;; amdgpu-corpus repo=ROCm/rocFFT kind=compiled arch=gfx1201 opt=O3
	.text
	.amdgcn_target "amdgcn-amd-amdhsa--gfx1201"
	.amdhsa_code_object_version 6
	.protected	fft_rtc_back_len980_factors_7_5_7_4_wgs_196_tpt_196_dp_op_CI_CI_unitstride_sbrr_R2C_dirReg ; -- Begin function fft_rtc_back_len980_factors_7_5_7_4_wgs_196_tpt_196_dp_op_CI_CI_unitstride_sbrr_R2C_dirReg
	.globl	fft_rtc_back_len980_factors_7_5_7_4_wgs_196_tpt_196_dp_op_CI_CI_unitstride_sbrr_R2C_dirReg
	.p2align	8
	.type	fft_rtc_back_len980_factors_7_5_7_4_wgs_196_tpt_196_dp_op_CI_CI_unitstride_sbrr_R2C_dirReg,@function
fft_rtc_back_len980_factors_7_5_7_4_wgs_196_tpt_196_dp_op_CI_CI_unitstride_sbrr_R2C_dirReg: ; @fft_rtc_back_len980_factors_7_5_7_4_wgs_196_tpt_196_dp_op_CI_CI_unitstride_sbrr_R2C_dirReg
; %bb.0:
	s_clause 0x2
	s_load_b128 s[8:11], s[0:1], 0x0
	s_load_b128 s[4:7], s[0:1], 0x58
	;; [unrolled: 1-line block ×3, first 2 shown]
	v_mul_u32_u24_e32 v1, 0x14f, v0
	v_mov_b32_e32 v3, 0
	s_delay_alu instid0(VALU_DEP_2) | instskip(NEXT) | instid1(VALU_DEP_1)
	v_lshrrev_b32_e32 v1, 16, v1
	v_add_nc_u32_e32 v5, ttmp9, v1
	v_mov_b32_e32 v1, 0
	v_mov_b32_e32 v2, 0
	;; [unrolled: 1-line block ×3, first 2 shown]
	s_wait_kmcnt 0x0
	v_cmp_lt_u64_e64 s2, s[10:11], 2
	s_delay_alu instid0(VALU_DEP_1)
	s_and_b32 vcc_lo, exec_lo, s2
	s_cbranch_vccnz .LBB0_8
; %bb.1:
	s_load_b64 s[2:3], s[0:1], 0x10
	v_mov_b32_e32 v1, 0
	v_mov_b32_e32 v2, 0
	s_add_nc_u64 s[16:17], s[14:15], 8
	s_add_nc_u64 s[18:19], s[12:13], 8
	s_mov_b64 s[20:21], 1
	s_delay_alu instid0(VALU_DEP_1)
	v_dual_mov_b32 v33, v2 :: v_dual_mov_b32 v32, v1
	s_wait_kmcnt 0x0
	s_add_nc_u64 s[22:23], s[2:3], 8
	s_mov_b32 s3, 0
.LBB0_2:                                ; =>This Inner Loop Header: Depth=1
	s_load_b64 s[24:25], s[22:23], 0x0
                                        ; implicit-def: $vgpr34_vgpr35
	s_mov_b32 s2, exec_lo
	s_wait_kmcnt 0x0
	v_or_b32_e32 v4, s25, v6
	s_delay_alu instid0(VALU_DEP_1)
	v_cmpx_ne_u64_e32 0, v[3:4]
	s_wait_alu 0xfffe
	s_xor_b32 s26, exec_lo, s2
	s_cbranch_execz .LBB0_4
; %bb.3:                                ;   in Loop: Header=BB0_2 Depth=1
	s_cvt_f32_u32 s2, s24
	s_cvt_f32_u32 s27, s25
	s_sub_nc_u64 s[30:31], 0, s[24:25]
	s_wait_alu 0xfffe
	s_delay_alu instid0(SALU_CYCLE_1) | instskip(SKIP_1) | instid1(SALU_CYCLE_2)
	s_fmamk_f32 s2, s27, 0x4f800000, s2
	s_wait_alu 0xfffe
	v_s_rcp_f32 s2, s2
	s_delay_alu instid0(TRANS32_DEP_1) | instskip(SKIP_1) | instid1(SALU_CYCLE_2)
	s_mul_f32 s2, s2, 0x5f7ffffc
	s_wait_alu 0xfffe
	s_mul_f32 s27, s2, 0x2f800000
	s_wait_alu 0xfffe
	s_delay_alu instid0(SALU_CYCLE_2) | instskip(SKIP_1) | instid1(SALU_CYCLE_2)
	s_trunc_f32 s27, s27
	s_wait_alu 0xfffe
	s_fmamk_f32 s2, s27, 0xcf800000, s2
	s_cvt_u32_f32 s29, s27
	s_wait_alu 0xfffe
	s_delay_alu instid0(SALU_CYCLE_1) | instskip(SKIP_1) | instid1(SALU_CYCLE_2)
	s_cvt_u32_f32 s28, s2
	s_wait_alu 0xfffe
	s_mul_u64 s[34:35], s[30:31], s[28:29]
	s_wait_alu 0xfffe
	s_mul_hi_u32 s37, s28, s35
	s_mul_i32 s36, s28, s35
	s_mul_hi_u32 s2, s28, s34
	s_mul_i32 s33, s29, s34
	s_wait_alu 0xfffe
	s_add_nc_u64 s[36:37], s[2:3], s[36:37]
	s_mul_hi_u32 s27, s29, s34
	s_mul_hi_u32 s38, s29, s35
	s_add_co_u32 s2, s36, s33
	s_wait_alu 0xfffe
	s_add_co_ci_u32 s2, s37, s27
	s_mul_i32 s34, s29, s35
	s_add_co_ci_u32 s35, s38, 0
	s_wait_alu 0xfffe
	s_add_nc_u64 s[34:35], s[2:3], s[34:35]
	s_wait_alu 0xfffe
	v_add_co_u32 v4, s2, s28, s34
	s_delay_alu instid0(VALU_DEP_1) | instskip(SKIP_1) | instid1(VALU_DEP_1)
	s_cmp_lg_u32 s2, 0
	s_add_co_ci_u32 s29, s29, s35
	v_readfirstlane_b32 s28, v4
	s_wait_alu 0xfffe
	s_delay_alu instid0(VALU_DEP_1)
	s_mul_u64 s[30:31], s[30:31], s[28:29]
	s_wait_alu 0xfffe
	s_mul_hi_u32 s35, s28, s31
	s_mul_i32 s34, s28, s31
	s_mul_hi_u32 s2, s28, s30
	s_mul_i32 s33, s29, s30
	s_wait_alu 0xfffe
	s_add_nc_u64 s[34:35], s[2:3], s[34:35]
	s_mul_hi_u32 s27, s29, s30
	s_mul_hi_u32 s28, s29, s31
	s_wait_alu 0xfffe
	s_add_co_u32 s2, s34, s33
	s_add_co_ci_u32 s2, s35, s27
	s_mul_i32 s30, s29, s31
	s_add_co_ci_u32 s31, s28, 0
	s_wait_alu 0xfffe
	s_add_nc_u64 s[30:31], s[2:3], s[30:31]
	s_wait_alu 0xfffe
	v_add_co_u32 v4, s2, v4, s30
	s_delay_alu instid0(VALU_DEP_1) | instskip(SKIP_1) | instid1(VALU_DEP_1)
	s_cmp_lg_u32 s2, 0
	s_add_co_ci_u32 s2, s29, s31
	v_mul_hi_u32 v13, v5, v4
	s_wait_alu 0xfffe
	v_mad_co_u64_u32 v[7:8], null, v5, s2, 0
	v_mad_co_u64_u32 v[9:10], null, v6, v4, 0
	;; [unrolled: 1-line block ×3, first 2 shown]
	s_delay_alu instid0(VALU_DEP_3) | instskip(SKIP_1) | instid1(VALU_DEP_4)
	v_add_co_u32 v4, vcc_lo, v13, v7
	s_wait_alu 0xfffd
	v_add_co_ci_u32_e32 v7, vcc_lo, 0, v8, vcc_lo
	s_delay_alu instid0(VALU_DEP_2) | instskip(SKIP_1) | instid1(VALU_DEP_2)
	v_add_co_u32 v4, vcc_lo, v4, v9
	s_wait_alu 0xfffd
	v_add_co_ci_u32_e32 v4, vcc_lo, v7, v10, vcc_lo
	s_wait_alu 0xfffd
	v_add_co_ci_u32_e32 v7, vcc_lo, 0, v12, vcc_lo
	s_delay_alu instid0(VALU_DEP_2) | instskip(SKIP_1) | instid1(VALU_DEP_2)
	v_add_co_u32 v4, vcc_lo, v4, v11
	s_wait_alu 0xfffd
	v_add_co_ci_u32_e32 v9, vcc_lo, 0, v7, vcc_lo
	s_delay_alu instid0(VALU_DEP_2) | instskip(SKIP_1) | instid1(VALU_DEP_3)
	v_mul_lo_u32 v10, s25, v4
	v_mad_co_u64_u32 v[7:8], null, s24, v4, 0
	v_mul_lo_u32 v11, s24, v9
	s_delay_alu instid0(VALU_DEP_2) | instskip(NEXT) | instid1(VALU_DEP_2)
	v_sub_co_u32 v7, vcc_lo, v5, v7
	v_add3_u32 v8, v8, v11, v10
	s_delay_alu instid0(VALU_DEP_1) | instskip(SKIP_1) | instid1(VALU_DEP_1)
	v_sub_nc_u32_e32 v10, v6, v8
	s_wait_alu 0xfffd
	v_subrev_co_ci_u32_e64 v10, s2, s25, v10, vcc_lo
	v_add_co_u32 v11, s2, v4, 2
	s_wait_alu 0xf1ff
	v_add_co_ci_u32_e64 v12, s2, 0, v9, s2
	v_sub_co_u32 v13, s2, v7, s24
	v_sub_co_ci_u32_e32 v8, vcc_lo, v6, v8, vcc_lo
	s_wait_alu 0xf1ff
	v_subrev_co_ci_u32_e64 v10, s2, 0, v10, s2
	s_delay_alu instid0(VALU_DEP_3) | instskip(NEXT) | instid1(VALU_DEP_3)
	v_cmp_le_u32_e32 vcc_lo, s24, v13
	v_cmp_eq_u32_e64 s2, s25, v8
	s_wait_alu 0xfffd
	v_cndmask_b32_e64 v13, 0, -1, vcc_lo
	v_cmp_le_u32_e32 vcc_lo, s25, v10
	s_wait_alu 0xfffd
	v_cndmask_b32_e64 v14, 0, -1, vcc_lo
	v_cmp_le_u32_e32 vcc_lo, s24, v7
	;; [unrolled: 3-line block ×3, first 2 shown]
	s_wait_alu 0xfffd
	v_cndmask_b32_e64 v15, 0, -1, vcc_lo
	v_cmp_eq_u32_e32 vcc_lo, s25, v10
	s_wait_alu 0xf1ff
	s_delay_alu instid0(VALU_DEP_2)
	v_cndmask_b32_e64 v7, v15, v7, s2
	s_wait_alu 0xfffd
	v_cndmask_b32_e32 v10, v14, v13, vcc_lo
	v_add_co_u32 v13, vcc_lo, v4, 1
	s_wait_alu 0xfffd
	v_add_co_ci_u32_e32 v14, vcc_lo, 0, v9, vcc_lo
	s_delay_alu instid0(VALU_DEP_3) | instskip(SKIP_1) | instid1(VALU_DEP_2)
	v_cmp_ne_u32_e32 vcc_lo, 0, v10
	s_wait_alu 0xfffd
	v_cndmask_b32_e32 v8, v14, v12, vcc_lo
	v_cndmask_b32_e32 v10, v13, v11, vcc_lo
	v_cmp_ne_u32_e32 vcc_lo, 0, v7
	s_wait_alu 0xfffd
	s_delay_alu instid0(VALU_DEP_2)
	v_dual_cndmask_b32 v35, v9, v8 :: v_dual_cndmask_b32 v34, v4, v10
.LBB0_4:                                ;   in Loop: Header=BB0_2 Depth=1
	s_wait_alu 0xfffe
	s_and_not1_saveexec_b32 s2, s26
	s_cbranch_execz .LBB0_6
; %bb.5:                                ;   in Loop: Header=BB0_2 Depth=1
	v_cvt_f32_u32_e32 v4, s24
	s_sub_co_i32 s26, 0, s24
	v_mov_b32_e32 v35, v3
	s_delay_alu instid0(VALU_DEP_2) | instskip(NEXT) | instid1(TRANS32_DEP_1)
	v_rcp_iflag_f32_e32 v4, v4
	v_mul_f32_e32 v4, 0x4f7ffffe, v4
	s_delay_alu instid0(VALU_DEP_1) | instskip(SKIP_1) | instid1(VALU_DEP_1)
	v_cvt_u32_f32_e32 v4, v4
	s_wait_alu 0xfffe
	v_mul_lo_u32 v7, s26, v4
	s_delay_alu instid0(VALU_DEP_1) | instskip(NEXT) | instid1(VALU_DEP_1)
	v_mul_hi_u32 v7, v4, v7
	v_add_nc_u32_e32 v4, v4, v7
	s_delay_alu instid0(VALU_DEP_1) | instskip(NEXT) | instid1(VALU_DEP_1)
	v_mul_hi_u32 v4, v5, v4
	v_mul_lo_u32 v7, v4, s24
	v_add_nc_u32_e32 v8, 1, v4
	s_delay_alu instid0(VALU_DEP_2) | instskip(NEXT) | instid1(VALU_DEP_1)
	v_sub_nc_u32_e32 v7, v5, v7
	v_subrev_nc_u32_e32 v9, s24, v7
	v_cmp_le_u32_e32 vcc_lo, s24, v7
	s_wait_alu 0xfffd
	s_delay_alu instid0(VALU_DEP_2) | instskip(NEXT) | instid1(VALU_DEP_1)
	v_dual_cndmask_b32 v7, v7, v9 :: v_dual_cndmask_b32 v4, v4, v8
	v_cmp_le_u32_e32 vcc_lo, s24, v7
	s_delay_alu instid0(VALU_DEP_2) | instskip(SKIP_1) | instid1(VALU_DEP_1)
	v_add_nc_u32_e32 v8, 1, v4
	s_wait_alu 0xfffd
	v_cndmask_b32_e32 v34, v4, v8, vcc_lo
.LBB0_6:                                ;   in Loop: Header=BB0_2 Depth=1
	s_wait_alu 0xfffe
	s_or_b32 exec_lo, exec_lo, s2
	v_mul_lo_u32 v4, v35, s24
	s_delay_alu instid0(VALU_DEP_2)
	v_mul_lo_u32 v9, v34, s25
	s_load_b64 s[26:27], s[18:19], 0x0
	v_mad_co_u64_u32 v[7:8], null, v34, s24, 0
	s_load_b64 s[24:25], s[16:17], 0x0
	s_add_nc_u64 s[20:21], s[20:21], 1
	s_add_nc_u64 s[16:17], s[16:17], 8
	s_wait_alu 0xfffe
	v_cmp_ge_u64_e64 s2, s[20:21], s[10:11]
	s_add_nc_u64 s[18:19], s[18:19], 8
	s_add_nc_u64 s[22:23], s[22:23], 8
	v_add3_u32 v4, v8, v9, v4
	v_sub_co_u32 v5, vcc_lo, v5, v7
	s_wait_alu 0xfffd
	s_delay_alu instid0(VALU_DEP_2) | instskip(SKIP_2) | instid1(VALU_DEP_1)
	v_sub_co_ci_u32_e32 v4, vcc_lo, v6, v4, vcc_lo
	s_and_b32 vcc_lo, exec_lo, s2
	s_wait_kmcnt 0x0
	v_mul_lo_u32 v6, s26, v4
	v_mul_lo_u32 v7, s27, v5
	v_mad_co_u64_u32 v[1:2], null, s26, v5, v[1:2]
	v_mul_lo_u32 v4, s24, v4
	v_mul_lo_u32 v8, s25, v5
	v_mad_co_u64_u32 v[32:33], null, s24, v5, v[32:33]
	s_delay_alu instid0(VALU_DEP_4) | instskip(NEXT) | instid1(VALU_DEP_2)
	v_add3_u32 v2, v7, v2, v6
	v_add3_u32 v33, v8, v33, v4
	s_wait_alu 0xfffe
	s_cbranch_vccnz .LBB0_9
; %bb.7:                                ;   in Loop: Header=BB0_2 Depth=1
	v_dual_mov_b32 v5, v34 :: v_dual_mov_b32 v6, v35
	s_branch .LBB0_2
.LBB0_8:
	v_dual_mov_b32 v33, v2 :: v_dual_mov_b32 v32, v1
	v_dual_mov_b32 v35, v6 :: v_dual_mov_b32 v34, v5
.LBB0_9:
	s_load_b64 s[0:1], s[0:1], 0x28
	v_mul_hi_u32 v3, 0x14e5e0b, v0
                                        ; implicit-def: $vgpr36
	s_wait_kmcnt 0x0
	s_delay_alu instid0(VALU_DEP_2) | instskip(SKIP_1) | instid1(VALU_DEP_1)
	v_cmp_gt_u64_e32 vcc_lo, s[0:1], v[34:35]
	v_cmp_le_u64_e64 s0, s[0:1], v[34:35]
	s_and_saveexec_b32 s1, s0
	s_wait_alu 0xfffe
	s_xor_b32 s0, exec_lo, s1
; %bb.10:
	s_delay_alu instid0(VALU_DEP_3) | instskip(NEXT) | instid1(VALU_DEP_1)
	v_mul_u32_u24_e32 v1, 0xc4, v3
                                        ; implicit-def: $vgpr3
	v_sub_nc_u32_e32 v36, v0, v1
                                        ; implicit-def: $vgpr0
                                        ; implicit-def: $vgpr1_vgpr2
; %bb.11:
	s_wait_alu 0xfffe
	s_or_saveexec_b32 s1, s0
	s_lshl_b64 s[2:3], s[10:11], 3
	s_wait_alu 0xfffe
	s_xor_b32 exec_lo, exec_lo, s1
	s_cbranch_execz .LBB0_13
; %bb.12:
	s_add_nc_u64 s[10:11], s[12:13], s[2:3]
	v_lshlrev_b64_e32 v[1:2], 4, v[1:2]
	s_load_b64 s[10:11], s[10:11], 0x0
	s_wait_kmcnt 0x0
	v_mul_lo_u32 v6, s11, v34
	v_mul_lo_u32 v7, s10, v35
	v_mad_co_u64_u32 v[4:5], null, s10, v34, 0
	s_delay_alu instid0(VALU_DEP_1) | instskip(SKIP_1) | instid1(VALU_DEP_2)
	v_add3_u32 v5, v5, v7, v6
	v_mul_u32_u24_e32 v6, 0xc4, v3
	v_lshlrev_b64_e32 v[3:4], 4, v[4:5]
	s_delay_alu instid0(VALU_DEP_2) | instskip(NEXT) | instid1(VALU_DEP_1)
	v_sub_nc_u32_e32 v36, v0, v6
	v_lshlrev_b32_e32 v20, 4, v36
	s_delay_alu instid0(VALU_DEP_3) | instskip(SKIP_1) | instid1(VALU_DEP_4)
	v_add_co_u32 v0, s0, s4, v3
	s_wait_alu 0xf1ff
	v_add_co_ci_u32_e64 v3, s0, s5, v4, s0
	s_delay_alu instid0(VALU_DEP_2) | instskip(SKIP_1) | instid1(VALU_DEP_2)
	v_add_co_u32 v0, s0, v0, v1
	s_wait_alu 0xf1ff
	v_add_co_ci_u32_e64 v1, s0, v3, v2, s0
	s_delay_alu instid0(VALU_DEP_2) | instskip(SKIP_1) | instid1(VALU_DEP_2)
	v_add_co_u32 v16, s0, v0, v20
	s_wait_alu 0xf1ff
	v_add_co_ci_u32_e64 v17, s0, 0, v1, s0
	s_clause 0x4
	global_load_b128 v[0:3], v[16:17], off
	global_load_b128 v[4:7], v[16:17], off offset:3136
	global_load_b128 v[8:11], v[16:17], off offset:6272
	;; [unrolled: 1-line block ×4, first 2 shown]
	v_add_nc_u32_e32 v20, 0, v20
	s_wait_loadcnt 0x4
	ds_store_b128 v20, v[0:3]
	s_wait_loadcnt 0x3
	ds_store_b128 v20, v[4:7] offset:3136
	s_wait_loadcnt 0x2
	ds_store_b128 v20, v[8:11] offset:6272
	;; [unrolled: 2-line block ×4, first 2 shown]
.LBB0_13:
	s_or_b32 exec_lo, exec_lo, s1
	v_lshl_add_u32 v57, v36, 4, 0
	global_wb scope:SCOPE_SE
	s_wait_dscnt 0x0
	s_barrier_signal -1
	s_barrier_wait -1
	global_inv scope:SCOPE_SE
	ds_load_b128 v[0:3], v57 offset:2240
	ds_load_b128 v[4:7], v57 offset:13440
	;; [unrolled: 1-line block ×6, first 2 shown]
	s_mov_b32 s4, 0xe976ee23
	s_mov_b32 s5, 0x3fe11646
	;; [unrolled: 1-line block ×8, first 2 shown]
	s_add_nc_u64 s[2:3], s[14:15], s[2:3]
	s_wait_dscnt 0x4
	v_add_f64_e32 v[24:25], v[0:1], v[4:5]
	v_add_f64_e32 v[26:27], v[2:3], v[6:7]
	s_wait_dscnt 0x2
	v_add_f64_e32 v[28:29], v[12:13], v[8:9]
	v_add_f64_e32 v[30:31], v[14:15], v[10:11]
	v_add_f64_e64 v[8:9], v[12:13], -v[8:9]
	v_add_f64_e64 v[10:11], v[14:15], -v[10:11]
	s_wait_dscnt 0x0
	v_add_f64_e32 v[37:38], v[16:17], v[20:21]
	v_add_f64_e64 v[12:13], v[20:21], -v[16:17]
	v_add_f64_e64 v[16:17], v[22:23], -v[18:19]
	v_add_f64_e32 v[39:40], v[18:19], v[22:23]
	v_add_f64_e64 v[4:5], v[0:1], -v[4:5]
	v_add_f64_e64 v[6:7], v[2:3], -v[6:7]
	v_add_f64_e32 v[0:1], v[28:29], v[24:25]
	v_add_f64_e32 v[2:3], v[30:31], v[26:27]
	v_add_f64_e64 v[14:15], v[28:29], -v[24:25]
	v_add_f64_e64 v[18:19], v[24:25], -v[37:38]
	v_add_f64_e64 v[20:21], v[12:13], -v[8:9]
	v_add_f64_e64 v[22:23], v[16:17], -v[10:11]
	v_add_f64_e64 v[41:42], v[26:27], -v[39:40]
	v_add_f64_e64 v[43:44], v[8:9], -v[4:5]
	v_add_f64_e64 v[45:46], v[10:11], -v[6:7]
	v_add_f64_e32 v[51:52], v[12:13], v[8:9]
	v_add_f64_e32 v[55:56], v[16:17], v[10:11]
	v_add_f64_e64 v[58:59], v[4:5], -v[12:13]
	v_add_f64_e64 v[60:61], v[6:7], -v[16:17]
	;; [unrolled: 1-line block ×4, first 2 shown]
	v_add_f64_e32 v[47:48], v[37:38], v[0:1]
	v_add_f64_e32 v[49:50], v[39:40], v[2:3]
	ds_load_b128 v[0:3], v57
	global_wb scope:SCOPE_SE
	s_wait_dscnt 0x0
	s_wait_alu 0xfffe
	v_mul_f64_e32 v[62:63], s[0:1], v[18:19]
	v_mul_f64_e32 v[16:17], s[4:5], v[20:21]
	;; [unrolled: 1-line block ×3, first 2 shown]
	v_add_f64_e64 v[22:23], v[30:31], -v[26:27]
	v_mul_f64_e32 v[26:27], s[0:1], v[41:42]
	v_mul_f64_e32 v[20:21], s[10:11], v[43:44]
	;; [unrolled: 1-line block ×3, first 2 shown]
	s_mov_b32 s4, 0x36b3c0b5
	s_mov_b32 s0, 0xaaaaaaaa
	;; [unrolled: 1-line block ×6, first 2 shown]
	v_add_f64_e32 v[53:54], v[51:52], v[4:5]
	v_add_f64_e32 v[55:56], v[55:56], v[6:7]
	s_barrier_signal -1
	s_barrier_wait -1
	global_inv scope:SCOPE_SE
	v_add_f64_e32 v[8:9], v[0:1], v[47:48]
	v_add_f64_e32 v[10:11], v[2:3], v[49:50]
	s_wait_alu 0xfffe
	v_fma_f64 v[0:1], v[14:15], s[10:11], -v[62:63]
	v_fma_f64 v[2:3], v[58:59], s[12:13], v[16:17]
	v_fma_f64 v[4:5], v[60:61], s[12:13], v[12:13]
	s_mov_b32 s13, 0x3fd5d0dc
	v_fma_f64 v[6:7], v[22:23], s[10:11], -v[26:27]
	s_wait_alu 0xfffe
	v_fma_f64 v[37:38], v[58:59], s[12:13], -v[20:21]
	v_fma_f64 v[39:40], v[60:61], s[12:13], -v[18:19]
	v_fma_f64 v[43:44], v[24:25], s[4:5], v[62:63]
	v_fma_f64 v[58:59], v[28:29], s[4:5], v[26:27]
	s_mov_b32 s12, 0x37c3f68c
	s_mov_b32 s13, 0xbfdc38aa
	v_fma_f64 v[41:42], v[47:48], s[0:1], v[8:9]
	v_fma_f64 v[49:50], v[49:50], s[0:1], v[10:11]
	v_cmp_gt_u32_e64 s0, 0x8c, v36
	s_wait_alu 0xfffe
	v_fma_f64 v[30:31], v[53:54], s[12:13], v[2:3]
	v_fma_f64 v[26:27], v[55:56], s[12:13], v[4:5]
	;; [unrolled: 1-line block ×4, first 2 shown]
	v_add_f64_e32 v[45:46], v[0:1], v[41:42]
	v_add_f64_e32 v[51:52], v[6:7], v[49:50]
	;; [unrolled: 1-line block ×4, first 2 shown]
	s_delay_alu instid0(VALU_DEP_4) | instskip(NEXT) | instid1(VALU_DEP_4)
	v_add_f64_e64 v[0:1], v[45:46], -v[39:40]
	v_add_f64_e32 v[2:3], v[47:48], v[51:52]
	s_delay_alu instid0(VALU_DEP_4) | instskip(NEXT) | instid1(VALU_DEP_4)
	v_add_f64_e64 v[4:5], v[37:38], -v[26:27]
	v_add_f64_e32 v[6:7], v[30:31], v[43:44]
	s_and_saveexec_b32 s1, s0
	s_cbranch_execz .LBB0_15
; %bb.14:
	s_mov_b32 s11, 0x3fe77f67
	v_mul_f64_e32 v[28:29], s[4:5], v[28:29]
	s_wait_alu 0xfffe
	v_mul_f64_e32 v[22:23], s[10:11], v[22:23]
	v_mul_f64_e32 v[24:25], s[4:5], v[24:25]
	;; [unrolled: 1-line block ×5, first 2 shown]
	v_add_f64_e64 v[16:17], v[20:21], -v[16:17]
	v_add_f64_e64 v[12:13], v[18:19], -v[12:13]
	;; [unrolled: 1-line block ×5, first 2 shown]
	v_add_f64_e32 v[24:25], v[53:54], v[16:17]
	v_add_f64_e32 v[28:29], v[55:56], v[12:13]
	v_add_f64_e32 v[16:17], v[37:38], v[26:27]
	v_add_f64_e32 v[12:13], v[45:46], v[39:40]
	v_add_f64_e32 v[20:21], v[20:21], v[49:50]
	v_add_f64_e32 v[41:42], v[14:15], v[41:42]
	v_add_f64_e64 v[14:15], v[51:52], -v[47:48]
	s_delay_alu instid0(VALU_DEP_3) | instskip(SKIP_1) | instid1(VALU_DEP_4)
	v_add_f64_e64 v[22:23], v[20:21], -v[24:25]
	v_add_f64_e32 v[26:27], v[24:25], v[20:21]
	v_add_f64_e64 v[24:25], v[41:42], -v[28:29]
	v_add_f64_e32 v[20:21], v[41:42], v[28:29]
	v_mad_u32_u24 v28, 0x60, v36, v57
	ds_store_b128 v28, v[8:11]
	ds_store_b128 v28, v[16:19] offset:16
	ds_store_b128 v28, v[12:15] offset:32
	;; [unrolled: 1-line block ×6, first 2 shown]
.LBB0_15:
	s_wait_alu 0xfffe
	s_or_b32 exec_lo, exec_lo, s1
	v_and_b32_e32 v28, 0xff, v36
	s_load_b64 s[2:3], s[2:3], 0x0
	global_wb scope:SCOPE_SE
	s_wait_dscnt 0x0
	s_wait_kmcnt 0x0
	s_barrier_signal -1
	s_barrier_wait -1
	v_mul_lo_u16 v8, v28, 37
	global_inv scope:SCOPE_SE
	s_mov_b32 s4, 0x134454ff
	s_mov_b32 s5, 0xbfee6f0e
	;; [unrolled: 1-line block ×3, first 2 shown]
	v_lshrrev_b16 v8, 8, v8
	s_wait_alu 0xfffe
	s_mov_b32 s10, s4
	s_delay_alu instid0(VALU_DEP_1) | instskip(NEXT) | instid1(VALU_DEP_1)
	v_sub_nc_u16 v9, v36, v8
	v_lshrrev_b16 v9, 1, v9
	s_delay_alu instid0(VALU_DEP_1) | instskip(NEXT) | instid1(VALU_DEP_1)
	v_and_b32_e32 v9, 0x7f, v9
	v_add_nc_u16 v8, v9, v8
	s_delay_alu instid0(VALU_DEP_1) | instskip(NEXT) | instid1(VALU_DEP_1)
	v_lshrrev_b16 v31, 2, v8
	v_mul_lo_u16 v8, v31, 7
	s_delay_alu instid0(VALU_DEP_1) | instskip(NEXT) | instid1(VALU_DEP_1)
	v_sub_nc_u16 v8, v36, v8
	v_and_b32_e32 v68, 0xff, v8
	s_delay_alu instid0(VALU_DEP_1)
	v_lshlrev_b32_e32 v20, 6, v68
	s_clause 0x3
	global_load_b128 v[8:11], v20, s[8:9]
	global_load_b128 v[12:15], v20, s[8:9] offset:16
	global_load_b128 v[16:19], v20, s[8:9] offset:32
	;; [unrolled: 1-line block ×3, first 2 shown]
	ds_load_b128 v[24:27], v57 offset:3136
	ds_load_b128 v[37:40], v57 offset:6272
	;; [unrolled: 1-line block ×4, first 2 shown]
	s_wait_loadcnt_dscnt 0x303
	v_mul_f64_e32 v[29:30], v[26:27], v[10:11]
	s_wait_loadcnt_dscnt 0x202
	v_mul_f64_e32 v[49:50], v[39:40], v[14:15]
	;; [unrolled: 2-line block ×3, first 2 shown]
	v_mul_f64_e32 v[10:11], v[24:25], v[10:11]
	s_wait_loadcnt_dscnt 0x0
	v_mul_f64_e32 v[53:54], v[47:48], v[22:23]
	v_mul_f64_e32 v[14:15], v[37:38], v[14:15]
	;; [unrolled: 1-line block ×4, first 2 shown]
	v_fma_f64 v[24:25], v[24:25], v[8:9], v[29:30]
	v_fma_f64 v[29:30], v[37:38], v[12:13], v[49:50]
	;; [unrolled: 1-line block ×3, first 2 shown]
	v_fma_f64 v[26:27], v[26:27], v[8:9], -v[10:11]
	v_fma_f64 v[41:42], v[45:46], v[20:21], v[53:54]
	v_fma_f64 v[12:13], v[39:40], v[12:13], -v[14:15]
	v_fma_f64 v[14:15], v[43:44], v[16:17], -v[18:19]
	;; [unrolled: 1-line block ×3, first 2 shown]
	ds_load_b128 v[8:11], v57
	global_wb scope:SCOPE_SE
	s_wait_dscnt 0x0
	s_barrier_signal -1
	s_barrier_wait -1
	global_inv scope:SCOPE_SE
	v_add_f64_e32 v[43:44], v[8:9], v[24:25]
	v_add_f64_e32 v[18:19], v[29:30], v[37:38]
	v_add_f64_e32 v[49:50], v[10:11], v[26:27]
	v_add_f64_e32 v[20:21], v[24:25], v[41:42]
	v_add_f64_e64 v[51:52], v[24:25], -v[41:42]
	v_add_f64_e32 v[22:23], v[12:13], v[14:15]
	v_add_f64_e32 v[39:40], v[26:27], v[16:17]
	v_add_f64_e64 v[45:46], v[26:27], -v[16:17]
	v_add_f64_e64 v[47:48], v[12:13], -v[14:15]
	;; [unrolled: 1-line block ×8, first 2 shown]
	v_fma_f64 v[18:19], v[18:19], -0.5, v[8:9]
	v_add_f64_e32 v[12:13], v[49:50], v[12:13]
	v_fma_f64 v[8:9], v[20:21], -0.5, v[8:9]
	v_add_f64_e64 v[20:21], v[29:30], -v[37:38]
	v_fma_f64 v[22:23], v[22:23], -0.5, v[10:11]
	v_fma_f64 v[10:11], v[39:40], -0.5, v[10:11]
	v_add_f64_e64 v[39:40], v[24:25], -v[29:30]
	v_add_f64_e64 v[24:25], v[29:30], -v[24:25]
	v_add_f64_e32 v[29:30], v[43:44], v[29:30]
	v_add_f64_e32 v[26:27], v[26:27], v[62:63]
	v_fma_f64 v[43:44], v[45:46], s[4:5], v[18:19]
	s_wait_alu 0xfffe
	v_fma_f64 v[18:19], v[45:46], s[10:11], v[18:19]
	v_fma_f64 v[49:50], v[47:48], s[10:11], v[8:9]
	;; [unrolled: 1-line block ×7, first 2 shown]
	s_mov_b32 s4, 0x4755a5e
	s_mov_b32 s5, 0xbfe2cf23
	;; [unrolled: 1-line block ×3, first 2 shown]
	s_wait_alu 0xfffe
	s_mov_b32 s10, s4
	v_add_f64_e32 v[39:40], v[39:40], v[53:54]
	v_add_f64_e32 v[53:54], v[24:25], v[55:56]
	;; [unrolled: 1-line block ×5, first 2 shown]
	v_fma_f64 v[14:15], v[47:48], s[4:5], v[43:44]
	s_wait_alu 0xfffe
	v_fma_f64 v[18:19], v[47:48], s[10:11], v[18:19]
	v_fma_f64 v[29:30], v[45:46], s[4:5], v[49:50]
	;; [unrolled: 1-line block ×7, first 2 shown]
	s_mov_b32 s4, 0x372fe950
	s_mov_b32 s5, 0x3fd3c6ef
	v_add_f64_e32 v[8:9], v[24:25], v[41:42]
	v_add_f64_e32 v[10:11], v[12:13], v[16:17]
	s_wait_alu 0xfffe
	v_fma_f64 v[12:13], v[39:40], s[4:5], v[14:15]
	v_fma_f64 v[24:25], v[39:40], s[4:5], v[18:19]
	v_fma_f64 v[16:17], v[53:54], s[4:5], v[29:30]
	v_fma_f64 v[20:21], v[53:54], s[4:5], v[37:38]
	v_fma_f64 v[14:15], v[55:56], s[4:5], v[43:44]
	v_fma_f64 v[18:19], v[26:27], s[4:5], v[45:46]
	v_fma_f64 v[22:23], v[26:27], s[4:5], v[47:48]
	v_fma_f64 v[26:27], v[55:56], s[4:5], v[49:50]
	v_and_b32_e32 v29, 0xffff, v31
	v_lshlrev_b32_e32 v30, 4, v68
	s_delay_alu instid0(VALU_DEP_2) | instskip(NEXT) | instid1(VALU_DEP_1)
	v_mul_u32_u24_e32 v29, 0x230, v29
	v_add3_u32 v29, 0, v29, v30
	ds_store_b128 v29, v[8:11]
	ds_store_b128 v29, v[12:15] offset:112
	ds_store_b128 v29, v[16:19] offset:224
	;; [unrolled: 1-line block ×4, first 2 shown]
	global_wb scope:SCOPE_SE
	s_wait_dscnt 0x0
	s_barrier_signal -1
	s_barrier_wait -1
	global_inv scope:SCOPE_SE
	s_and_saveexec_b32 s1, s0
	s_cbranch_execz .LBB0_17
; %bb.16:
	ds_load_b128 v[8:11], v57
	ds_load_b128 v[12:15], v57 offset:2240
	ds_load_b128 v[16:19], v57 offset:4480
	;; [unrolled: 1-line block ×6, first 2 shown]
.LBB0_17:
	s_wait_alu 0xfffe
	s_or_b32 exec_lo, exec_lo, s1
	v_mul_lo_u16 v28, 0xeb, v28
	s_mov_b32 s10, 0xe976ee23
	s_mov_b32 s4, 0x36b3c0b5
	;; [unrolled: 1-line block ×4, first 2 shown]
	v_lshrrev_b16 v45, 13, v28
	s_mov_b32 s12, 0x37e14327
	s_mov_b32 s13, 0x3fe948f6
	;; [unrolled: 1-line block ×4, first 2 shown]
	v_mul_lo_u16 v28, v45, 35
	s_mov_b32 s17, 0xbfd5d0dc
	s_mov_b32 s16, 0xb247c609
	s_delay_alu instid0(VALU_DEP_1) | instskip(NEXT) | instid1(VALU_DEP_1)
	v_sub_nc_u16 v28, v36, v28
	v_and_b32_e32 v46, 0xff, v28
	s_delay_alu instid0(VALU_DEP_1) | instskip(NEXT) | instid1(VALU_DEP_1)
	v_mul_u32_u24_e32 v28, 6, v46
	v_lshlrev_b32_e32 v55, 4, v28
	s_clause 0x5
	global_load_b128 v[28:31], v55, s[8:9] offset:448
	global_load_b128 v[37:40], v55, s[8:9] offset:464
	;; [unrolled: 1-line block ×6, first 2 shown]
	global_wb scope:SCOPE_SE
	s_wait_loadcnt_dscnt 0x0
	s_barrier_signal -1
	s_barrier_wait -1
	global_inv scope:SCOPE_SE
	v_mul_f64_e32 v[55:56], v[14:15], v[30:31]
	v_mul_f64_e32 v[30:31], v[12:13], v[30:31]
	;; [unrolled: 1-line block ×12, first 2 shown]
	v_fma_f64 v[12:13], v[12:13], v[28:29], v[55:56]
	v_fma_f64 v[14:15], v[14:15], v[28:29], -v[30:31]
	v_fma_f64 v[16:17], v[16:17], v[37:38], v[62:63]
	v_fma_f64 v[18:19], v[18:19], v[37:38], -v[39:40]
	;; [unrolled: 2-line block ×6, first 2 shown]
	v_add_f64_e32 v[28:29], v[12:13], v[4:5]
	v_add_f64_e32 v[30:31], v[14:15], v[6:7]
	;; [unrolled: 1-line block ×4, first 2 shown]
	v_add_f64_e64 v[0:1], v[16:17], -v[0:1]
	v_add_f64_e64 v[2:3], v[18:19], -v[2:3]
	v_add_f64_e32 v[16:17], v[20:21], v[24:25]
	v_add_f64_e32 v[18:19], v[22:23], v[26:27]
	v_add_f64_e64 v[20:21], v[24:25], -v[20:21]
	v_add_f64_e64 v[22:23], v[26:27], -v[22:23]
	;; [unrolled: 1-line block ×4, first 2 shown]
	v_add_f64_e32 v[12:13], v[37:38], v[28:29]
	v_add_f64_e32 v[14:15], v[39:40], v[30:31]
	v_add_f64_e64 v[24:25], v[16:17], -v[37:38]
	v_add_f64_e64 v[26:27], v[18:19], -v[39:40]
	;; [unrolled: 1-line block ×6, first 2 shown]
	v_add_f64_e32 v[0:1], v[20:21], v[0:1]
	v_add_f64_e32 v[2:3], v[22:23], v[2:3]
	v_add_f64_e64 v[20:21], v[4:5], -v[20:21]
	v_add_f64_e64 v[22:23], v[6:7], -v[22:23]
	v_add_f64_e32 v[51:52], v[16:17], v[12:13]
	v_add_f64_e32 v[53:54], v[18:19], v[14:15]
	v_add_f64_e64 v[16:17], v[28:29], -v[16:17]
	v_add_f64_e64 v[18:19], v[30:31], -v[18:19]
	;; [unrolled: 1-line block ×4, first 2 shown]
	s_wait_alu 0xfffe
	v_mul_f64_e32 v[41:42], s[10:11], v[41:42]
	v_mul_f64_e32 v[43:44], s[10:11], v[43:44]
	s_mov_b32 s10, 0x429ad128
	v_mul_f64_e32 v[37:38], s[4:5], v[24:25]
	v_mul_f64_e32 v[39:40], s[4:5], v[26:27]
	s_mov_b32 s11, 0xbfebfeb5
	v_add_f64_e32 v[0:1], v[0:1], v[4:5]
	s_wait_alu 0xfffe
	v_mul_f64_e32 v[55:56], s[10:11], v[47:48]
	v_mul_f64_e32 v[58:59], s[10:11], v[49:50]
	v_add_f64_e32 v[2:3], v[2:3], v[6:7]
	v_add_f64_e32 v[12:13], v[8:9], v[51:52]
	;; [unrolled: 1-line block ×3, first 2 shown]
	v_mul_f64_e32 v[8:9], s[12:13], v[16:17]
	v_mul_f64_e32 v[10:11], s[12:13], v[18:19]
	s_mov_b32 s12, 0xaaaaaaaa
	s_mov_b32 s13, 0xbff2aaaa
	v_fma_f64 v[16:17], v[20:21], s[16:17], v[41:42]
	v_fma_f64 v[18:19], v[22:23], s[16:17], v[43:44]
	s_mov_b32 s17, 0x3fd5d0dc
	v_fma_f64 v[4:5], v[28:29], s[14:15], -v[37:38]
	v_fma_f64 v[6:7], v[30:31], s[14:15], -v[39:40]
	s_mov_b32 s15, 0xbfe77f67
	v_fma_f64 v[37:38], v[47:48], s[10:11], -v[41:42]
	v_fma_f64 v[41:42], v[49:50], s[10:11], -v[43:44]
	s_wait_alu 0xfffe
	v_fma_f64 v[43:44], v[20:21], s[16:17], -v[55:56]
	v_fma_f64 v[22:23], v[22:23], s[16:17], -v[58:59]
	v_fma_f64 v[47:48], v[51:52], s[12:13], v[12:13]
	v_fma_f64 v[49:50], v[53:54], s[12:13], v[14:15]
	v_fma_f64 v[28:29], v[28:29], s[14:15], -v[8:9]
	v_fma_f64 v[51:52], v[30:31], s[14:15], -v[10:11]
	v_fma_f64 v[8:9], v[24:25], s[4:5], v[8:9]
	v_fma_f64 v[10:11], v[26:27], s[4:5], v[10:11]
	s_mov_b32 s4, 0x37c3f68c
	s_mov_b32 s5, 0xbfdc38aa
	s_wait_alu 0xfffe
	v_fma_f64 v[20:21], v[0:1], s[4:5], v[16:17]
	v_fma_f64 v[16:17], v[2:3], s[4:5], v[18:19]
	v_fma_f64 v[39:40], v[0:1], s[4:5], v[37:38]
	v_fma_f64 v[18:19], v[2:3], s[4:5], v[41:42]
	v_fma_f64 v[30:31], v[0:1], s[4:5], v[43:44]
	v_fma_f64 v[24:25], v[2:3], s[4:5], v[22:23]
	v_add_f64_e32 v[22:23], v[4:5], v[47:48]
	v_add_f64_e32 v[43:44], v[6:7], v[49:50]
	;; [unrolled: 1-line block ×7, first 2 shown]
	v_add_f64_e64 v[2:3], v[43:44], -v[39:40]
	v_add_f64_e64 v[4:5], v[26:27], -v[24:25]
	v_add_f64_e32 v[6:7], v[30:31], v[41:42]
	v_add_f64_e64 v[8:9], v[28:29], -v[16:17]
	v_add_f64_e32 v[10:11], v[20:21], v[37:38]
	s_and_saveexec_b32 s1, s0
	s_cbranch_execz .LBB0_19
; %bb.18:
	v_add_f64_e32 v[39:40], v[39:40], v[43:44]
	v_add_f64_e64 v[30:31], v[41:42], -v[30:31]
	v_add_f64_e64 v[43:44], v[37:38], -v[20:21]
	v_add_f64_e32 v[41:42], v[16:17], v[28:29]
	v_add_f64_e32 v[28:29], v[24:25], v[26:27]
	v_add_f64_e64 v[37:38], v[22:23], -v[18:19]
	v_and_b32_e32 v16, 0xffff, v45
	v_lshlrev_b32_e32 v17, 4, v46
	s_delay_alu instid0(VALU_DEP_2) | instskip(NEXT) | instid1(VALU_DEP_1)
	v_mul_u32_u24_e32 v16, 0xf50, v16
	v_add3_u32 v16, 0, v16, v17
	ds_store_b128 v16, v[0:3] offset:2240
	ds_store_b128 v16, v[4:7] offset:2800
	ds_store_b128 v16, v[12:15]
	ds_store_b128 v16, v[41:44] offset:560
	ds_store_b128 v16, v[28:31] offset:1120
	;; [unrolled: 1-line block ×4, first 2 shown]
.LBB0_19:
	s_wait_alu 0xfffe
	s_or_b32 exec_lo, exec_lo, s1
	global_wb scope:SCOPE_SE
	s_wait_dscnt 0x0
	s_barrier_signal -1
	s_barrier_wait -1
	global_inv scope:SCOPE_SE
	ds_load_b128 v[16:19], v57
	ds_load_b128 v[28:31], v57 offset:3920
	ds_load_b128 v[24:27], v57 offset:7840
	;; [unrolled: 1-line block ×3, first 2 shown]
	v_cmp_gt_u32_e64 s0, 49, v36
                                        ; implicit-def: $vgpr14_vgpr15
	s_delay_alu instid0(VALU_DEP_1)
	s_and_saveexec_b32 s1, s0
	s_cbranch_execz .LBB0_21
; %bb.20:
	ds_load_b128 v[0:3], v57 offset:3136
	ds_load_b128 v[4:7], v57 offset:7056
	;; [unrolled: 1-line block ×4, first 2 shown]
.LBB0_21:
	s_wait_alu 0xfffe
	s_or_b32 exec_lo, exec_lo, s1
	v_mul_u32_u24_e32 v37, 3, v36
	s_delay_alu instid0(VALU_DEP_1)
	v_lshlrev_b32_e32 v45, 4, v37
	s_clause 0x2
	global_load_b128 v[37:40], v45, s[8:9] offset:3808
	global_load_b128 v[41:44], v45, s[8:9] offset:3824
	;; [unrolled: 1-line block ×3, first 2 shown]
	global_wb scope:SCOPE_SE
	s_wait_loadcnt_dscnt 0x0
	s_barrier_signal -1
	s_barrier_wait -1
	global_inv scope:SCOPE_SE
	v_mul_f64_e32 v[49:50], v[30:31], v[39:40]
	v_mul_f64_e32 v[39:40], v[28:29], v[39:40]
	;; [unrolled: 1-line block ×6, first 2 shown]
	v_fma_f64 v[28:29], v[28:29], v[37:38], v[49:50]
	v_fma_f64 v[30:31], v[30:31], v[37:38], -v[39:40]
	v_fma_f64 v[24:25], v[24:25], v[41:42], v[51:52]
	v_fma_f64 v[26:27], v[26:27], v[41:42], -v[43:44]
	v_fma_f64 v[20:21], v[20:21], v[45:46], v[53:54]
	v_fma_f64 v[22:23], v[22:23], v[45:46], -v[47:48]
	s_delay_alu instid0(VALU_DEP_4) | instskip(NEXT) | instid1(VALU_DEP_4)
	v_add_f64_e64 v[24:25], v[16:17], -v[24:25]
	v_add_f64_e64 v[26:27], v[18:19], -v[26:27]
	s_delay_alu instid0(VALU_DEP_4) | instskip(NEXT) | instid1(VALU_DEP_4)
	v_add_f64_e64 v[37:38], v[28:29], -v[20:21]
	v_add_f64_e64 v[20:21], v[30:31], -v[22:23]
	s_delay_alu instid0(VALU_DEP_4) | instskip(NEXT) | instid1(VALU_DEP_4)
	v_fma_f64 v[39:40], v[16:17], 2.0, -v[24:25]
	v_fma_f64 v[41:42], v[18:19], 2.0, -v[26:27]
	s_delay_alu instid0(VALU_DEP_4) | instskip(NEXT) | instid1(VALU_DEP_4)
	v_fma_f64 v[18:19], v[28:29], 2.0, -v[37:38]
	v_fma_f64 v[22:23], v[30:31], 2.0, -v[20:21]
	v_add_f64_e32 v[16:17], v[24:25], v[20:21]
	s_delay_alu instid0(VALU_DEP_3) | instskip(NEXT) | instid1(VALU_DEP_3)
	v_add_f64_e64 v[20:21], v[39:40], -v[18:19]
	v_add_f64_e64 v[22:23], v[41:42], -v[22:23]
	;; [unrolled: 1-line block ×3, first 2 shown]
	s_delay_alu instid0(VALU_DEP_4) | instskip(NEXT) | instid1(VALU_DEP_4)
	v_fma_f64 v[24:25], v[24:25], 2.0, -v[16:17]
	v_fma_f64 v[28:29], v[39:40], 2.0, -v[20:21]
	s_delay_alu instid0(VALU_DEP_4) | instskip(NEXT) | instid1(VALU_DEP_4)
	v_fma_f64 v[30:31], v[41:42], 2.0, -v[22:23]
	v_fma_f64 v[26:27], v[26:27], 2.0, -v[18:19]
	ds_store_b128 v57, v[28:31]
	ds_store_b128 v57, v[24:27] offset:3920
	ds_store_b128 v57, v[20:23] offset:7840
	;; [unrolled: 1-line block ×3, first 2 shown]
	s_and_saveexec_b32 s1, s0
	s_cbranch_execz .LBB0_23
; %bb.22:
	v_add_nc_u32_e32 v16, 0xc4, v36
	v_subrev_nc_u32_e32 v17, 49, v36
	s_delay_alu instid0(VALU_DEP_1) | instskip(SKIP_1) | instid1(VALU_DEP_2)
	v_cndmask_b32_e64 v16, v17, v16, s0
	v_mov_b32_e32 v17, 0
	v_mul_i32_i24_e32 v16, 3, v16
	s_delay_alu instid0(VALU_DEP_1) | instskip(NEXT) | instid1(VALU_DEP_1)
	v_lshlrev_b64_e32 v[16:17], 4, v[16:17]
	v_add_co_u32 v24, s0, s8, v16
	s_wait_alu 0xf1ff
	s_delay_alu instid0(VALU_DEP_2)
	v_add_co_ci_u32_e64 v25, s0, s9, v17, s0
	s_clause 0x2
	global_load_b128 v[16:19], v[24:25], off offset:3824
	global_load_b128 v[20:23], v[24:25], off offset:3808
	;; [unrolled: 1-line block ×3, first 2 shown]
	s_wait_loadcnt 0x2
	v_mul_f64_e32 v[28:29], v[8:9], v[18:19]
	s_wait_loadcnt 0x1
	v_mul_f64_e32 v[30:31], v[6:7], v[22:23]
	v_mul_f64_e32 v[22:23], v[4:5], v[22:23]
	s_wait_loadcnt 0x0
	v_mul_f64_e32 v[37:38], v[12:13], v[26:27]
	v_mul_f64_e32 v[18:19], v[10:11], v[18:19]
	;; [unrolled: 1-line block ×3, first 2 shown]
	v_fma_f64 v[10:11], v[10:11], v[16:17], -v[28:29]
	v_fma_f64 v[4:5], v[4:5], v[20:21], v[30:31]
	v_fma_f64 v[6:7], v[6:7], v[20:21], -v[22:23]
	v_fma_f64 v[14:15], v[14:15], v[24:25], -v[37:38]
	v_fma_f64 v[8:9], v[8:9], v[16:17], v[18:19]
	v_fma_f64 v[12:13], v[12:13], v[24:25], v[26:27]
	v_add_f64_e64 v[10:11], v[2:3], -v[10:11]
	s_delay_alu instid0(VALU_DEP_4) | instskip(NEXT) | instid1(VALU_DEP_4)
	v_add_f64_e64 v[14:15], v[6:7], -v[14:15]
	v_add_f64_e64 v[8:9], v[0:1], -v[8:9]
	s_delay_alu instid0(VALU_DEP_4) | instskip(NEXT) | instid1(VALU_DEP_4)
	v_add_f64_e64 v[12:13], v[4:5], -v[12:13]
	v_fma_f64 v[16:17], v[2:3], 2.0, -v[10:11]
	s_delay_alu instid0(VALU_DEP_4) | instskip(NEXT) | instid1(VALU_DEP_4)
	v_fma_f64 v[6:7], v[6:7], 2.0, -v[14:15]
	v_fma_f64 v[18:19], v[0:1], 2.0, -v[8:9]
	s_delay_alu instid0(VALU_DEP_4) | instskip(SKIP_1) | instid1(VALU_DEP_4)
	v_fma_f64 v[0:1], v[4:5], 2.0, -v[12:13]
	v_add_f64_e64 v[2:3], v[10:11], -v[12:13]
	v_add_f64_e64 v[6:7], v[16:17], -v[6:7]
	s_delay_alu instid0(VALU_DEP_3) | instskip(SKIP_1) | instid1(VALU_DEP_4)
	v_add_f64_e64 v[4:5], v[18:19], -v[0:1]
	v_add_f64_e32 v[0:1], v[8:9], v[14:15]
	v_fma_f64 v[10:11], v[10:11], 2.0, -v[2:3]
	s_delay_alu instid0(VALU_DEP_4) | instskip(NEXT) | instid1(VALU_DEP_4)
	v_fma_f64 v[14:15], v[16:17], 2.0, -v[6:7]
	v_fma_f64 v[12:13], v[18:19], 2.0, -v[4:5]
	s_delay_alu instid0(VALU_DEP_4)
	v_fma_f64 v[8:9], v[8:9], 2.0, -v[0:1]
	ds_store_b128 v57, v[12:15] offset:3136
	ds_store_b128 v57, v[8:11] offset:7056
	;; [unrolled: 1-line block ×4, first 2 shown]
.LBB0_23:
	s_wait_alu 0xfffe
	s_or_b32 exec_lo, exec_lo, s1
	global_wb scope:SCOPE_SE
	s_wait_dscnt 0x0
	s_barrier_signal -1
	s_barrier_wait -1
	global_inv scope:SCOPE_SE
	ds_load_b128 v[4:7], v57
	v_lshlrev_b32_e32 v0, 4, v36
	s_mov_b32 s1, exec_lo
                                        ; implicit-def: $vgpr2_vgpr3
                                        ; implicit-def: $vgpr8_vgpr9
                                        ; implicit-def: $vgpr10_vgpr11
	s_delay_alu instid0(VALU_DEP_1)
	v_sub_nc_u32_e32 v12, 0, v0
	v_cmpx_ne_u32_e32 0, v36
	s_wait_alu 0xfffe
	s_xor_b32 s1, exec_lo, s1
	s_cbranch_execz .LBB0_25
; %bb.24:
	v_mov_b32_e32 v37, 0
	s_delay_alu instid0(VALU_DEP_1) | instskip(NEXT) | instid1(VALU_DEP_1)
	v_lshlrev_b64_e32 v[0:1], 4, v[36:37]
	v_add_co_u32 v0, s0, s8, v0
	s_wait_alu 0xf1ff
	s_delay_alu instid0(VALU_DEP_2)
	v_add_co_ci_u32_e64 v1, s0, s9, v1, s0
	global_load_b128 v[13:16], v[0:1], off offset:15568
	ds_load_b128 v[0:3], v12 offset:15680
	s_wait_dscnt 0x0
	v_add_f64_e64 v[8:9], v[4:5], -v[0:1]
	v_add_f64_e32 v[10:11], v[6:7], v[2:3]
	v_add_f64_e64 v[2:3], v[6:7], -v[2:3]
	v_add_f64_e32 v[0:1], v[4:5], v[0:1]
	s_delay_alu instid0(VALU_DEP_4) | instskip(NEXT) | instid1(VALU_DEP_4)
	v_mul_f64_e32 v[6:7], 0.5, v[8:9]
	v_mul_f64_e32 v[4:5], 0.5, v[10:11]
	s_delay_alu instid0(VALU_DEP_4) | instskip(SKIP_1) | instid1(VALU_DEP_3)
	v_mul_f64_e32 v[2:3], 0.5, v[2:3]
	s_wait_loadcnt 0x0
	v_mul_f64_e32 v[8:9], v[6:7], v[15:16]
	s_delay_alu instid0(VALU_DEP_2) | instskip(SKIP_1) | instid1(VALU_DEP_3)
	v_fma_f64 v[10:11], v[4:5], v[15:16], v[2:3]
	v_fma_f64 v[2:3], v[4:5], v[15:16], -v[2:3]
	v_fma_f64 v[17:18], v[0:1], 0.5, v[8:9]
	v_fma_f64 v[0:1], v[0:1], 0.5, -v[8:9]
	s_delay_alu instid0(VALU_DEP_4) | instskip(NEXT) | instid1(VALU_DEP_4)
	v_fma_f64 v[8:9], -v[13:14], v[6:7], v[10:11]
	v_fma_f64 v[2:3], -v[13:14], v[6:7], v[2:3]
	v_dual_mov_b32 v10, v36 :: v_dual_mov_b32 v11, v37
	v_fma_f64 v[15:16], v[4:5], v[13:14], v[17:18]
	v_fma_f64 v[0:1], -v[4:5], v[13:14], v[0:1]
                                        ; implicit-def: $vgpr4_vgpr5
	ds_store_b64 v57, v[15:16]
.LBB0_25:
	s_wait_alu 0xfffe
	s_and_not1_saveexec_b32 s0, s1
	s_cbranch_execz .LBB0_27
; %bb.26:
	s_wait_dscnt 0x0
	v_add_f64_e32 v[13:14], v[4:5], v[6:7]
	v_add_f64_e64 v[0:1], v[4:5], -v[6:7]
	v_mov_b32_e32 v6, 0
	v_mov_b32_e32 v8, 0
	v_dual_mov_b32 v9, 0 :: v_dual_mov_b32 v10, 0
	s_delay_alu instid0(VALU_DEP_2)
	v_mov_b32_e32 v2, v8
	ds_load_b64 v[4:5], v6 offset:7848
	v_mov_b32_e32 v11, 0
	v_mov_b32_e32 v3, v9
	s_wait_dscnt 0x0
	v_xor_b32_e32 v5, 0x80000000, v5
	ds_store_b64 v57, v[13:14]
	ds_store_b64 v6, v[4:5] offset:7848
.LBB0_27:
	s_wait_alu 0xfffe
	s_or_b32 exec_lo, exec_lo, s0
	s_wait_dscnt 0x0
	v_lshlrev_b64_e32 v[4:5], 4, v[10:11]
	s_add_nc_u64 s[0:1], s[8:9], 0x3cd0
	s_wait_alu 0xfffe
	s_delay_alu instid0(VALU_DEP_1) | instskip(SKIP_1) | instid1(VALU_DEP_2)
	v_add_co_u32 v4, s0, s0, v4
	s_wait_alu 0xf1ff
	v_add_co_ci_u32_e64 v5, s0, s1, v5, s0
	s_mov_b32 s1, exec_lo
	global_load_b128 v[13:16], v[4:5], off offset:3136
	ds_store_b64 v57, v[8:9] offset:8
	ds_store_b128 v12, v[0:3] offset:15680
	ds_load_b128 v[0:3], v57 offset:3136
	ds_load_b128 v[6:9], v12 offset:12544
	s_wait_dscnt 0x0
	v_add_f64_e64 v[10:11], v[0:1], -v[6:7]
	v_add_f64_e32 v[17:18], v[2:3], v[8:9]
	v_add_f64_e64 v[2:3], v[2:3], -v[8:9]
	v_add_f64_e32 v[0:1], v[0:1], v[6:7]
	s_delay_alu instid0(VALU_DEP_4) | instskip(NEXT) | instid1(VALU_DEP_4)
	v_mul_f64_e32 v[8:9], 0.5, v[10:11]
	v_mul_f64_e32 v[10:11], 0.5, v[17:18]
	s_delay_alu instid0(VALU_DEP_4) | instskip(SKIP_1) | instid1(VALU_DEP_3)
	v_mul_f64_e32 v[2:3], 0.5, v[2:3]
	s_wait_loadcnt 0x0
	v_mul_f64_e32 v[6:7], v[8:9], v[15:16]
	s_delay_alu instid0(VALU_DEP_2) | instskip(SKIP_1) | instid1(VALU_DEP_3)
	v_fma_f64 v[17:18], v[10:11], v[15:16], v[2:3]
	v_fma_f64 v[15:16], v[10:11], v[15:16], -v[2:3]
	v_fma_f64 v[19:20], v[0:1], 0.5, v[6:7]
	v_fma_f64 v[6:7], v[0:1], 0.5, -v[6:7]
	s_delay_alu instid0(VALU_DEP_4) | instskip(NEXT) | instid1(VALU_DEP_4)
	v_fma_f64 v[2:3], -v[13:14], v[8:9], v[17:18]
	v_fma_f64 v[8:9], -v[13:14], v[8:9], v[15:16]
	s_delay_alu instid0(VALU_DEP_4) | instskip(NEXT) | instid1(VALU_DEP_4)
	v_fma_f64 v[0:1], v[10:11], v[13:14], v[19:20]
	v_fma_f64 v[6:7], -v[10:11], v[13:14], v[6:7]
	ds_store_b128 v57, v[0:3] offset:3136
	ds_store_b128 v12, v[6:9] offset:12544
	v_cmpx_gt_u32_e32 0x62, v36
	s_cbranch_execz .LBB0_29
; %bb.28:
	global_load_b128 v[0:3], v[4:5], off offset:6272
	ds_load_b128 v[4:7], v57 offset:6272
	ds_load_b128 v[8:11], v12 offset:9408
	s_wait_dscnt 0x0
	v_add_f64_e64 v[13:14], v[4:5], -v[8:9]
	v_add_f64_e32 v[15:16], v[6:7], v[10:11]
	v_add_f64_e64 v[6:7], v[6:7], -v[10:11]
	v_add_f64_e32 v[4:5], v[4:5], v[8:9]
	s_delay_alu instid0(VALU_DEP_4) | instskip(NEXT) | instid1(VALU_DEP_4)
	v_mul_f64_e32 v[10:11], 0.5, v[13:14]
	v_mul_f64_e32 v[13:14], 0.5, v[15:16]
	s_delay_alu instid0(VALU_DEP_4) | instskip(SKIP_1) | instid1(VALU_DEP_3)
	v_mul_f64_e32 v[6:7], 0.5, v[6:7]
	s_wait_loadcnt 0x0
	v_mul_f64_e32 v[8:9], v[10:11], v[2:3]
	s_delay_alu instid0(VALU_DEP_2) | instskip(SKIP_1) | instid1(VALU_DEP_3)
	v_fma_f64 v[15:16], v[13:14], v[2:3], v[6:7]
	v_fma_f64 v[2:3], v[13:14], v[2:3], -v[6:7]
	v_fma_f64 v[6:7], v[4:5], 0.5, v[8:9]
	v_fma_f64 v[17:18], v[4:5], 0.5, -v[8:9]
	s_delay_alu instid0(VALU_DEP_4) | instskip(NEXT) | instid1(VALU_DEP_4)
	v_fma_f64 v[4:5], -v[0:1], v[10:11], v[15:16]
	v_fma_f64 v[8:9], -v[0:1], v[10:11], v[2:3]
	s_delay_alu instid0(VALU_DEP_4) | instskip(NEXT) | instid1(VALU_DEP_4)
	v_fma_f64 v[2:3], v[13:14], v[0:1], v[6:7]
	v_fma_f64 v[6:7], -v[13:14], v[0:1], v[17:18]
	ds_store_b128 v57, v[2:5] offset:6272
	ds_store_b128 v12, v[6:9] offset:9408
.LBB0_29:
	s_wait_alu 0xfffe
	s_or_b32 exec_lo, exec_lo, s1
	global_wb scope:SCOPE_SE
	s_wait_dscnt 0x0
	s_barrier_signal -1
	s_barrier_wait -1
	global_inv scope:SCOPE_SE
	s_and_saveexec_b32 s0, vcc_lo
	s_cbranch_execz .LBB0_32
; %bb.30:
	v_mul_lo_u32 v2, s3, v34
	v_mul_lo_u32 v3, s2, v35
	v_mad_co_u64_u32 v[0:1], null, s2, v34, 0
	v_dual_mov_b32 v37, 0 :: v_dual_add_nc_u32 v12, 0xc4, v36
	v_lshlrev_b64_e32 v[10:11], 4, v[32:33]
	v_add_nc_u32_e32 v14, 0x188, v36
	v_lshl_add_u32 v20, v36, 4, 0
	s_delay_alu instid0(VALU_DEP_4) | instskip(SKIP_4) | instid1(VALU_DEP_4)
	v_mov_b32_e32 v13, v37
	v_add3_u32 v1, v1, v3, v2
	v_lshlrev_b64_e32 v[16:17], 4, v[36:37]
	v_dual_mov_b32 v15, v37 :: v_dual_add_nc_u32 v18, 0x24c, v36
	v_dual_mov_b32 v19, v37 :: v_dual_add_nc_u32 v30, 0x310, v36
	v_lshlrev_b64_e32 v[0:1], 4, v[0:1]
	ds_load_b128 v[2:5], v20
	ds_load_b128 v[6:9], v20 offset:3136
	v_lshlrev_b64_e32 v[26:27], 4, v[14:15]
	v_mov_b32_e32 v31, v37
	v_lshlrev_b64_e32 v[28:29], 4, v[18:19]
	v_add_co_u32 v0, vcc_lo, s6, v0
	s_wait_alu 0xfffd
	v_add_co_ci_u32_e32 v1, vcc_lo, s7, v1, vcc_lo
	v_lshlrev_b64_e32 v[30:31], 4, v[30:31]
	s_delay_alu instid0(VALU_DEP_3) | instskip(SKIP_1) | instid1(VALU_DEP_3)
	v_add_co_u32 v0, vcc_lo, v0, v10
	s_wait_alu 0xfffd
	v_add_co_ci_u32_e32 v1, vcc_lo, v1, v11, vcc_lo
	v_lshlrev_b64_e32 v[10:11], 4, v[12:13]
	s_delay_alu instid0(VALU_DEP_3) | instskip(SKIP_1) | instid1(VALU_DEP_3)
	v_add_co_u32 v22, vcc_lo, v0, v16
	s_wait_alu 0xfffd
	v_add_co_ci_u32_e32 v23, vcc_lo, v1, v17, vcc_lo
	s_delay_alu instid0(VALU_DEP_3)
	v_add_co_u32 v24, vcc_lo, v0, v10
	s_wait_alu 0xfffd
	v_add_co_ci_u32_e32 v25, vcc_lo, v1, v11, vcc_lo
	ds_load_b128 v[10:13], v20 offset:6272
	ds_load_b128 v[14:17], v20 offset:9408
	;; [unrolled: 1-line block ×3, first 2 shown]
	v_add_co_u32 v26, vcc_lo, v0, v26
	s_wait_alu 0xfffd
	v_add_co_ci_u32_e32 v27, vcc_lo, v1, v27, vcc_lo
	v_add_co_u32 v28, vcc_lo, v0, v28
	s_wait_alu 0xfffd
	v_add_co_ci_u32_e32 v29, vcc_lo, v1, v29, vcc_lo
	;; [unrolled: 3-line block ×3, first 2 shown]
	v_cmp_eq_u32_e32 vcc_lo, 0xc3, v36
	s_wait_dscnt 0x4
	global_store_b128 v[22:23], v[2:5], off
	s_wait_dscnt 0x3
	global_store_b128 v[24:25], v[6:9], off
	;; [unrolled: 2-line block ×5, first 2 shown]
	s_and_b32 exec_lo, exec_lo, vcc_lo
	s_cbranch_execz .LBB0_32
; %bb.31:
	ds_load_b128 v[2:5], v37 offset:15680
	s_wait_dscnt 0x0
	global_store_b128 v[0:1], v[2:5], off offset:15680
.LBB0_32:
	s_nop 0
	s_sendmsg sendmsg(MSG_DEALLOC_VGPRS)
	s_endpgm
	.section	.rodata,"a",@progbits
	.p2align	6, 0x0
	.amdhsa_kernel fft_rtc_back_len980_factors_7_5_7_4_wgs_196_tpt_196_dp_op_CI_CI_unitstride_sbrr_R2C_dirReg
		.amdhsa_group_segment_fixed_size 0
		.amdhsa_private_segment_fixed_size 0
		.amdhsa_kernarg_size 104
		.amdhsa_user_sgpr_count 2
		.amdhsa_user_sgpr_dispatch_ptr 0
		.amdhsa_user_sgpr_queue_ptr 0
		.amdhsa_user_sgpr_kernarg_segment_ptr 1
		.amdhsa_user_sgpr_dispatch_id 0
		.amdhsa_user_sgpr_private_segment_size 0
		.amdhsa_wavefront_size32 1
		.amdhsa_uses_dynamic_stack 0
		.amdhsa_enable_private_segment 0
		.amdhsa_system_sgpr_workgroup_id_x 1
		.amdhsa_system_sgpr_workgroup_id_y 0
		.amdhsa_system_sgpr_workgroup_id_z 0
		.amdhsa_system_sgpr_workgroup_info 0
		.amdhsa_system_vgpr_workitem_id 0
		.amdhsa_next_free_vgpr 72
		.amdhsa_next_free_sgpr 39
		.amdhsa_reserve_vcc 1
		.amdhsa_float_round_mode_32 0
		.amdhsa_float_round_mode_16_64 0
		.amdhsa_float_denorm_mode_32 3
		.amdhsa_float_denorm_mode_16_64 3
		.amdhsa_fp16_overflow 0
		.amdhsa_workgroup_processor_mode 1
		.amdhsa_memory_ordered 1
		.amdhsa_forward_progress 0
		.amdhsa_round_robin_scheduling 0
		.amdhsa_exception_fp_ieee_invalid_op 0
		.amdhsa_exception_fp_denorm_src 0
		.amdhsa_exception_fp_ieee_div_zero 0
		.amdhsa_exception_fp_ieee_overflow 0
		.amdhsa_exception_fp_ieee_underflow 0
		.amdhsa_exception_fp_ieee_inexact 0
		.amdhsa_exception_int_div_zero 0
	.end_amdhsa_kernel
	.text
.Lfunc_end0:
	.size	fft_rtc_back_len980_factors_7_5_7_4_wgs_196_tpt_196_dp_op_CI_CI_unitstride_sbrr_R2C_dirReg, .Lfunc_end0-fft_rtc_back_len980_factors_7_5_7_4_wgs_196_tpt_196_dp_op_CI_CI_unitstride_sbrr_R2C_dirReg
                                        ; -- End function
	.section	.AMDGPU.csdata,"",@progbits
; Kernel info:
; codeLenInByte = 6808
; NumSgprs: 41
; NumVgprs: 72
; ScratchSize: 0
; MemoryBound: 0
; FloatMode: 240
; IeeeMode: 1
; LDSByteSize: 0 bytes/workgroup (compile time only)
; SGPRBlocks: 5
; VGPRBlocks: 8
; NumSGPRsForWavesPerEU: 41
; NumVGPRsForWavesPerEU: 72
; Occupancy: 16
; WaveLimiterHint : 1
; COMPUTE_PGM_RSRC2:SCRATCH_EN: 0
; COMPUTE_PGM_RSRC2:USER_SGPR: 2
; COMPUTE_PGM_RSRC2:TRAP_HANDLER: 0
; COMPUTE_PGM_RSRC2:TGID_X_EN: 1
; COMPUTE_PGM_RSRC2:TGID_Y_EN: 0
; COMPUTE_PGM_RSRC2:TGID_Z_EN: 0
; COMPUTE_PGM_RSRC2:TIDIG_COMP_CNT: 0
	.text
	.p2alignl 7, 3214868480
	.fill 96, 4, 3214868480
	.type	__hip_cuid_fc7072d1a627efad,@object ; @__hip_cuid_fc7072d1a627efad
	.section	.bss,"aw",@nobits
	.globl	__hip_cuid_fc7072d1a627efad
__hip_cuid_fc7072d1a627efad:
	.byte	0                               ; 0x0
	.size	__hip_cuid_fc7072d1a627efad, 1

	.ident	"AMD clang version 19.0.0git (https://github.com/RadeonOpenCompute/llvm-project roc-6.4.0 25133 c7fe45cf4b819c5991fe208aaa96edf142730f1d)"
	.section	".note.GNU-stack","",@progbits
	.addrsig
	.addrsig_sym __hip_cuid_fc7072d1a627efad
	.amdgpu_metadata
---
amdhsa.kernels:
  - .args:
      - .actual_access:  read_only
        .address_space:  global
        .offset:         0
        .size:           8
        .value_kind:     global_buffer
      - .offset:         8
        .size:           8
        .value_kind:     by_value
      - .actual_access:  read_only
        .address_space:  global
        .offset:         16
        .size:           8
        .value_kind:     global_buffer
      - .actual_access:  read_only
        .address_space:  global
        .offset:         24
        .size:           8
        .value_kind:     global_buffer
      - .actual_access:  read_only
        .address_space:  global
        .offset:         32
        .size:           8
        .value_kind:     global_buffer
      - .offset:         40
        .size:           8
        .value_kind:     by_value
      - .actual_access:  read_only
        .address_space:  global
        .offset:         48
        .size:           8
        .value_kind:     global_buffer
      - .actual_access:  read_only
        .address_space:  global
        .offset:         56
        .size:           8
        .value_kind:     global_buffer
      - .offset:         64
        .size:           4
        .value_kind:     by_value
      - .actual_access:  read_only
        .address_space:  global
        .offset:         72
        .size:           8
        .value_kind:     global_buffer
      - .actual_access:  read_only
        .address_space:  global
        .offset:         80
        .size:           8
        .value_kind:     global_buffer
      - .actual_access:  read_only
        .address_space:  global
        .offset:         88
        .size:           8
        .value_kind:     global_buffer
      - .actual_access:  write_only
        .address_space:  global
        .offset:         96
        .size:           8
        .value_kind:     global_buffer
    .group_segment_fixed_size: 0
    .kernarg_segment_align: 8
    .kernarg_segment_size: 104
    .language:       OpenCL C
    .language_version:
      - 2
      - 0
    .max_flat_workgroup_size: 196
    .name:           fft_rtc_back_len980_factors_7_5_7_4_wgs_196_tpt_196_dp_op_CI_CI_unitstride_sbrr_R2C_dirReg
    .private_segment_fixed_size: 0
    .sgpr_count:     41
    .sgpr_spill_count: 0
    .symbol:         fft_rtc_back_len980_factors_7_5_7_4_wgs_196_tpt_196_dp_op_CI_CI_unitstride_sbrr_R2C_dirReg.kd
    .uniform_work_group_size: 1
    .uses_dynamic_stack: false
    .vgpr_count:     72
    .vgpr_spill_count: 0
    .wavefront_size: 32
    .workgroup_processor_mode: 1
amdhsa.target:   amdgcn-amd-amdhsa--gfx1201
amdhsa.version:
  - 1
  - 2
...

	.end_amdgpu_metadata
